;; amdgpu-corpus repo=ROCm/rocFFT kind=compiled arch=gfx1030 opt=O3
	.text
	.amdgcn_target "amdgcn-amd-amdhsa--gfx1030"
	.amdhsa_code_object_version 6
	.protected	fft_rtc_fwd_len192_factors_8_6_4_wgs_480_tpt_48_dp_op_CI_CI_sbcc_twdbase8_2step ; -- Begin function fft_rtc_fwd_len192_factors_8_6_4_wgs_480_tpt_48_dp_op_CI_CI_sbcc_twdbase8_2step
	.globl	fft_rtc_fwd_len192_factors_8_6_4_wgs_480_tpt_48_dp_op_CI_CI_sbcc_twdbase8_2step
	.p2align	8
	.type	fft_rtc_fwd_len192_factors_8_6_4_wgs_480_tpt_48_dp_op_CI_CI_sbcc_twdbase8_2step,@function
fft_rtc_fwd_len192_factors_8_6_4_wgs_480_tpt_48_dp_op_CI_CI_sbcc_twdbase8_2step: ; @fft_rtc_fwd_len192_factors_8_6_4_wgs_480_tpt_48_dp_op_CI_CI_sbcc_twdbase8_2step
; %bb.0:
	s_clause 0x1
	s_load_dwordx4 s[16:19], s[4:5], 0x18
	s_load_dwordx2 s[30:31], s[4:5], 0x28
	s_mov_b64 s[24:25], 0
	s_waitcnt lgkmcnt(0)
	s_load_dwordx2 s[28:29], s[16:17], 0x8
	s_waitcnt lgkmcnt(0)
	s_add_u32 s0, s28, -1
	s_addc_u32 s1, s29, -1
	s_add_u32 s2, 0, 0x99986000
	s_addc_u32 s3, 0, 0x59
	s_mul_hi_u32 s8, s2, -10
	s_add_i32 s3, s3, 0x19999940
	s_sub_i32 s8, s8, s2
	s_mul_i32 s10, s3, -10
	s_mul_i32 s7, s2, -10
	s_add_i32 s8, s8, s10
	s_mul_hi_u32 s9, s2, s7
	s_mul_i32 s12, s2, s8
	s_mul_hi_u32 s10, s2, s8
	s_mul_hi_u32 s11, s3, s7
	s_mul_i32 s7, s3, s7
	s_add_u32 s9, s9, s12
	s_addc_u32 s10, 0, s10
	s_mul_hi_u32 s13, s3, s8
	s_add_u32 s7, s9, s7
	s_mul_i32 s8, s3, s8
	s_addc_u32 s7, s10, s11
	s_addc_u32 s9, s13, 0
	s_add_u32 s7, s7, s8
	v_add_co_u32 v1, s2, s2, s7
	s_addc_u32 s7, 0, s9
	s_cmp_lg_u32 s2, 0
	s_addc_u32 s2, s3, s7
	v_readfirstlane_b32 s3, v1
	s_mul_i32 s8, s0, s2
	s_mul_hi_u32 s7, s0, s2
	s_mul_hi_u32 s9, s1, s2
	s_mul_i32 s2, s1, s2
	s_mul_hi_u32 s10, s0, s3
	s_mul_hi_u32 s11, s1, s3
	s_mul_i32 s3, s1, s3
	s_add_u32 s8, s10, s8
	s_addc_u32 s7, 0, s7
	s_add_u32 s3, s8, s3
	s_addc_u32 s3, s7, s11
	s_addc_u32 s7, s9, 0
	s_add_u32 s2, s3, s2
	s_addc_u32 s3, 0, s7
	s_mul_i32 s8, s2, 10
	s_add_u32 s7, s2, 1
	v_sub_co_u32 v1, s0, s0, s8
	s_mul_hi_u32 s8, s2, 10
	s_addc_u32 s9, s3, 0
	s_mul_i32 s10, s3, 10
	v_sub_co_u32 v2, s11, v1, 10
	s_add_u32 s12, s2, 2
	s_addc_u32 s13, s3, 0
	s_add_i32 s8, s8, s10
	s_cmp_lg_u32 s0, 0
	v_readfirstlane_b32 s0, v2
	s_subb_u32 s1, s1, s8
	s_cmp_lg_u32 s11, 0
	s_subb_u32 s8, s1, 0
	s_cmp_gt_u32 s0, 9
	s_cselect_b32 s0, -1, 0
	s_cmp_eq_u32 s8, 0
	v_readfirstlane_b32 s8, v1
	s_cselect_b32 s0, s0, -1
	s_cmp_lg_u32 s0, 0
	s_cselect_b32 s0, s12, s7
	s_cselect_b32 s9, s13, s9
	s_cmp_gt_u32 s8, 9
	s_cselect_b32 s7, -1, 0
	s_cmp_eq_u32 s1, 0
	s_cselect_b32 s1, s7, -1
	s_mov_b32 s7, 0
	s_cmp_lg_u32 s1, 0
	s_cselect_b32 s0, s0, s2
	s_cselect_b32 s1, s9, s3
	s_add_u32 s36, s0, 1
	s_addc_u32 s37, s1, 0
	v_cmp_lt_u64_e64 s0, s[6:7], s[36:37]
	s_and_b32 vcc_lo, exec_lo, s0
	s_cbranch_vccnz .LBB0_2
; %bb.1:
	v_cvt_f32_u32_e32 v1, s36
	s_sub_i32 s1, 0, s36
	s_mov_b32 s25, s7
	v_rcp_iflag_f32_e32 v1, v1
	v_mul_f32_e32 v1, 0x4f7ffffe, v1
	v_cvt_u32_f32_e32 v1, v1
	v_readfirstlane_b32 s0, v1
	s_mul_i32 s1, s1, s0
	s_mul_hi_u32 s1, s0, s1
	s_add_i32 s0, s0, s1
	s_mul_hi_u32 s0, s6, s0
	s_mul_i32 s1, s0, s36
	s_add_i32 s2, s0, 1
	s_sub_i32 s1, s6, s1
	s_sub_i32 s3, s1, s36
	s_cmp_ge_u32 s1, s36
	s_cselect_b32 s0, s2, s0
	s_cselect_b32 s1, s3, s1
	s_add_i32 s2, s0, 1
	s_cmp_ge_u32 s1, s36
	s_cselect_b32 s24, s2, s0
.LBB0_2:
	s_load_dwordx4 s[20:23], s[18:19], 0x0
	s_load_dwordx4 s[0:3], s[30:31], 0x0
	s_clause 0x1
	s_load_dwordx4 s[12:15], s[4:5], 0x8
	s_load_dwordx2 s[26:27], s[4:5], 0x0
	s_mul_i32 s8, s24, s37
	s_mul_hi_u32 s9, s24, s36
	s_mul_i32 s10, s24, s36
	s_add_i32 s9, s9, s8
	s_sub_u32 s50, s6, s10
	s_subb_u32 s8, 0, s9
	s_mul_hi_u32 s33, s50, 10
	s_mul_i32 s34, s8, 10
	s_load_dwordx4 s[8:11], s[4:5], 0x60
	s_add_i32 s33, s33, s34
	s_mul_i32 s50, s50, 10
	s_waitcnt lgkmcnt(0)
	s_mul_i32 s4, s22, s33
	s_mul_hi_u32 s5, s22, s50
	v_cmp_lt_u64_e64 s40, s[14:15], 3
	s_mul_i32 s35, s2, s33
	s_mul_hi_u32 s38, s2, s50
	s_mul_i32 s34, s23, s50
	s_mul_i32 s39, s3, s50
	s_add_i32 s4, s5, s4
	s_add_i32 s5, s38, s35
	;; [unrolled: 1-line block ×3, first 2 shown]
	s_mul_i32 s34, s22, s50
	s_add_i32 s5, s5, s39
	s_and_b32 vcc_lo, exec_lo, s40
	s_mul_i32 s4, s2, s50
	s_cbranch_vccnz .LBB0_12
; %bb.3:
	s_add_u32 s38, s30, 16
	s_addc_u32 s39, s31, 0
	s_add_u32 s40, s18, 16
	s_addc_u32 s41, s19, 0
	;; [unrolled: 2-line block ×3, first 2 shown]
	s_mov_b64 s[42:43], 2
	s_mov_b32 s44, 0
.LBB0_4:                                ; =>This Inner Loop Header: Depth=1
	s_load_dwordx2 s[46:47], s[16:17], 0x0
	s_waitcnt lgkmcnt(0)
	s_or_b64 s[48:49], s[24:25], s[46:47]
	s_mov_b32 s45, s49
                                        ; implicit-def: $sgpr48_sgpr49
	s_cmp_lg_u64 s[44:45], 0
	s_mov_b32 s45, -1
	s_cbranch_scc0 .LBB0_6
; %bb.5:                                ;   in Loop: Header=BB0_4 Depth=1
	v_cvt_f32_u32_e32 v1, s46
	v_cvt_f32_u32_e32 v2, s47
	s_sub_u32 s49, 0, s46
	s_subb_u32 s51, 0, s47
	v_fmac_f32_e32 v1, 0x4f800000, v2
	v_rcp_f32_e32 v1, v1
	v_mul_f32_e32 v1, 0x5f7ffffc, v1
	v_mul_f32_e32 v2, 0x2f800000, v1
	v_trunc_f32_e32 v2, v2
	v_fmac_f32_e32 v1, 0xcf800000, v2
	v_cvt_u32_f32_e32 v2, v2
	v_cvt_u32_f32_e32 v1, v1
	v_readfirstlane_b32 s45, v2
	v_readfirstlane_b32 s48, v1
	s_mul_i32 s52, s49, s45
	s_mul_hi_u32 s54, s49, s48
	s_mul_i32 s53, s51, s48
	s_add_i32 s52, s54, s52
	s_mul_i32 s55, s49, s48
	s_add_i32 s52, s52, s53
	s_mul_hi_u32 s54, s48, s55
	s_mul_hi_u32 s56, s45, s55
	s_mul_i32 s53, s45, s55
	s_mul_hi_u32 s55, s48, s52
	s_mul_i32 s48, s48, s52
	s_mul_hi_u32 s57, s45, s52
	s_add_u32 s48, s54, s48
	s_addc_u32 s54, 0, s55
	s_add_u32 s48, s48, s53
	s_mul_i32 s52, s45, s52
	s_addc_u32 s48, s54, s56
	s_addc_u32 s53, s57, 0
	s_add_u32 s48, s48, s52
	s_addc_u32 s52, 0, s53
	v_add_co_u32 v1, s48, v1, s48
	s_cmp_lg_u32 s48, 0
	s_addc_u32 s45, s45, s52
	v_readfirstlane_b32 s48, v1
	s_mul_i32 s52, s49, s45
	s_mul_hi_u32 s53, s49, s48
	s_mul_i32 s51, s51, s48
	s_add_i32 s52, s53, s52
	s_mul_i32 s49, s49, s48
	s_add_i32 s52, s52, s51
	s_mul_hi_u32 s53, s45, s49
	s_mul_i32 s54, s45, s49
	s_mul_hi_u32 s49, s48, s49
	s_mul_hi_u32 s55, s48, s52
	s_mul_i32 s48, s48, s52
	s_mul_hi_u32 s51, s45, s52
	s_add_u32 s48, s49, s48
	s_addc_u32 s49, 0, s55
	s_add_u32 s48, s48, s54
	s_mul_i32 s52, s45, s52
	s_addc_u32 s48, s49, s53
	s_addc_u32 s49, s51, 0
	s_add_u32 s48, s48, s52
	s_addc_u32 s49, 0, s49
	v_add_co_u32 v1, s48, v1, s48
	s_cmp_lg_u32 s48, 0
	s_addc_u32 s45, s45, s49
	v_readfirstlane_b32 s48, v1
	s_mul_i32 s51, s24, s45
	s_mul_hi_u32 s49, s24, s45
	s_mul_hi_u32 s52, s25, s45
	s_mul_i32 s45, s25, s45
	s_mul_hi_u32 s53, s24, s48
	s_mul_hi_u32 s54, s25, s48
	s_mul_i32 s48, s25, s48
	s_add_u32 s51, s53, s51
	s_addc_u32 s49, 0, s49
	s_add_u32 s48, s51, s48
	s_addc_u32 s48, s49, s54
	s_addc_u32 s49, s52, 0
	s_add_u32 s48, s48, s45
	s_addc_u32 s49, 0, s49
	s_mul_hi_u32 s45, s46, s48
	s_mul_i32 s52, s46, s49
	s_mul_i32 s53, s46, s48
	s_add_i32 s45, s45, s52
	v_sub_co_u32 v1, s52, s24, s53
	s_mul_i32 s51, s47, s48
	s_add_i32 s45, s45, s51
	v_sub_co_u32 v2, s53, v1, s46
	s_sub_i32 s51, s25, s45
	s_cmp_lg_u32 s52, 0
	s_subb_u32 s51, s51, s47
	s_cmp_lg_u32 s53, 0
	v_readfirstlane_b32 s53, v2
	s_subb_u32 s51, s51, 0
	s_cmp_ge_u32 s51, s47
	s_cselect_b32 s54, -1, 0
	s_cmp_ge_u32 s53, s46
	s_cselect_b32 s53, -1, 0
	s_cmp_eq_u32 s51, s47
	s_cselect_b32 s51, s53, s54
	s_add_u32 s53, s48, 1
	s_addc_u32 s54, s49, 0
	s_add_u32 s55, s48, 2
	s_addc_u32 s56, s49, 0
	s_cmp_lg_u32 s51, 0
	s_cselect_b32 s51, s55, s53
	s_cselect_b32 s53, s56, s54
	s_cmp_lg_u32 s52, 0
	v_readfirstlane_b32 s52, v1
	s_subb_u32 s45, s25, s45
	s_cmp_ge_u32 s45, s47
	s_cselect_b32 s54, -1, 0
	s_cmp_ge_u32 s52, s46
	s_cselect_b32 s52, -1, 0
	s_cmp_eq_u32 s45, s47
	s_cselect_b32 s45, s52, s54
	s_cmp_lg_u32 s45, 0
	s_mov_b32 s45, 0
	s_cselect_b32 s49, s53, s49
	s_cselect_b32 s48, s51, s48
.LBB0_6:                                ;   in Loop: Header=BB0_4 Depth=1
	s_andn2_b32 vcc_lo, exec_lo, s45
	s_cbranch_vccnz .LBB0_8
; %bb.7:                                ;   in Loop: Header=BB0_4 Depth=1
	v_cvt_f32_u32_e32 v1, s46
	s_sub_i32 s48, 0, s46
	v_rcp_iflag_f32_e32 v1, v1
	v_mul_f32_e32 v1, 0x4f7ffffe, v1
	v_cvt_u32_f32_e32 v1, v1
	v_readfirstlane_b32 s45, v1
	s_mul_i32 s48, s48, s45
	s_mul_hi_u32 s48, s45, s48
	s_add_i32 s45, s45, s48
	s_mul_hi_u32 s45, s24, s45
	s_mul_i32 s48, s45, s46
	s_add_i32 s49, s45, 1
	s_sub_i32 s48, s24, s48
	s_sub_i32 s51, s48, s46
	s_cmp_ge_u32 s48, s46
	s_cselect_b32 s45, s49, s45
	s_cselect_b32 s48, s51, s48
	s_add_i32 s49, s45, 1
	s_cmp_ge_u32 s48, s46
	s_cselect_b32 s48, s49, s45
	s_mov_b32 s49, s44
.LBB0_8:                                ;   in Loop: Header=BB0_4 Depth=1
	s_load_dwordx2 s[52:53], s[40:41], 0x0
	s_load_dwordx2 s[54:55], s[38:39], 0x0
	s_mul_i32 s37, s46, s37
	s_mul_hi_u32 s45, s46, s36
	s_mul_i32 s51, s47, s36
	s_mul_i32 s47, s48, s47
	s_mul_hi_u32 s56, s48, s46
	s_mul_i32 s57, s49, s46
	s_add_i32 s37, s45, s37
	s_add_i32 s45, s56, s47
	s_mul_i32 s58, s48, s46
	s_add_i32 s37, s37, s51
	s_add_i32 s45, s45, s57
	s_sub_u32 s24, s24, s58
	s_subb_u32 s25, s25, s45
	s_mul_i32 s36, s46, s36
	s_waitcnt lgkmcnt(0)
	s_mul_i32 s45, s52, s25
	s_mul_hi_u32 s47, s52, s24
	s_mul_i32 s51, s53, s24
	s_add_i32 s45, s47, s45
	s_mul_i32 s52, s52, s24
	s_mul_i32 s25, s54, s25
	s_mul_hi_u32 s47, s54, s24
	s_add_i32 s45, s45, s51
	s_add_u32 s34, s52, s34
	s_addc_u32 s35, s45, s35
	s_add_i32 s25, s47, s25
	s_mul_i32 s45, s55, s24
	s_mul_i32 s24, s54, s24
	s_add_i32 s25, s25, s45
	s_add_u32 s4, s24, s4
	s_addc_u32 s5, s25, s5
	s_add_u32 s42, s42, 1
	s_addc_u32 s43, s43, 0
	s_add_u32 s38, s38, 8
	v_cmp_ge_u64_e64 s24, s[42:43], s[14:15]
	s_addc_u32 s39, s39, 0
	s_add_u32 s40, s40, 8
	s_addc_u32 s41, s41, 0
	s_add_u32 s16, s16, 8
	s_addc_u32 s17, s17, 0
	s_and_b32 vcc_lo, exec_lo, s24
	s_cbranch_vccnz .LBB0_10
; %bb.9:                                ;   in Loop: Header=BB0_4 Depth=1
	s_mov_b64 s[24:25], s[48:49]
	s_branch .LBB0_4
.LBB0_10:
	v_cmp_lt_u64_e64 s7, s[6:7], s[36:37]
	s_mov_b64 s[24:25], 0
	s_and_b32 vcc_lo, exec_lo, s7
	s_cbranch_vccnz .LBB0_12
; %bb.11:
	v_cvt_f32_u32_e32 v1, s36
	s_sub_i32 s16, 0, s36
	v_rcp_iflag_f32_e32 v1, v1
	v_mul_f32_e32 v1, 0x4f7ffffe, v1
	v_cvt_u32_f32_e32 v1, v1
	v_readfirstlane_b32 s7, v1
	s_mul_i32 s16, s16, s7
	s_mul_hi_u32 s16, s7, s16
	s_add_i32 s7, s7, s16
	s_mul_hi_u32 s7, s6, s7
	s_mul_i32 s16, s7, s36
	s_sub_i32 s6, s6, s16
	s_add_i32 s16, s7, 1
	s_sub_i32 s17, s6, s36
	s_cmp_ge_u32 s6, s36
	s_cselect_b32 s7, s16, s7
	s_cselect_b32 s6, s17, s6
	s_add_i32 s16, s7, 1
	s_cmp_ge_u32 s6, s36
	s_cselect_b32 s24, s16, s7
.LBB0_12:
	v_mul_u32_u24_e32 v1, 0x199a, v0
	s_lshl_b64 s[14:15], s[14:15], 3
	s_add_u32 s6, s30, s14
	s_addc_u32 s7, s31, s15
	v_lshrrev_b32_e32 v37, 16, v1
	s_add_u32 s16, s50, 10
	v_mul_lo_u16 v1, v37, 10
	v_lshlrev_b32_e32 v36, 4, v37
	v_add_nc_u32_e32 v33, 48, v37
	v_add_nc_u32_e32 v34, 0x60, v37
	;; [unrolled: 1-line block ×3, first 2 shown]
	v_sub_nc_u16 v1, v0, v1
	v_and_b32_e32 v38, 0xffff, v1
	v_add_co_u32 v1, s17, s50, v38
	v_add_co_ci_u32_e64 v2, null, s33, 0, s17
	s_addc_u32 s17, s33, 0
	v_mul_u32_u24_e32 v35, 0xc00, v38
	v_cmp_le_u64_e64 s16, s[16:17], s[28:29]
	v_cmp_gt_u64_e32 vcc_lo, s[28:29], v[1:2]
	s_or_b32 s16, s16, vcc_lo
	s_and_saveexec_b32 s17, s16
	s_cbranch_execz .LBB0_14
; %bb.13:
	s_add_u32 s14, s18, s14
	s_addc_u32 s15, s19, s15
	v_mad_u64_u32 v[1:2], null, s22, v38, 0
	s_load_dwordx2 s[14:15], s[14:15], 0x0
	v_mad_u64_u32 v[3:4], null, s20, v37, 0
	v_mad_u64_u32 v[5:6], null, s20, v33, 0
	;; [unrolled: 1-line block ×7, first 2 shown]
	v_add3_u32 v17, 0, v35, v36
	v_mov_b32_e32 v2, v11
	v_mov_b32_e32 v4, v12
	s_waitcnt lgkmcnt(0)
	s_mul_i32 s15, s15, s24
	s_mul_hi_u32 s18, s14, s24
	s_mul_i32 s14, s14, s24
	s_add_i32 s15, s18, s15
	v_lshlrev_b64 v[1:2], 4, v[1:2]
	s_lshl_b64 s[14:15], s[14:15], 4
	v_mad_u64_u32 v[11:12], null, s21, v34, v[8:9]
	s_add_u32 s14, s8, s14
	s_addc_u32 s15, s9, s15
	s_lshl_b64 s[8:9], s[34:35], 4
	v_mov_b32_e32 v8, v10
	s_add_u32 s8, s14, s8
	s_addc_u32 s9, s15, s9
	v_mov_b32_e32 v6, v13
	v_add_co_u32 v13, vcc_lo, s8, v1
	v_add_co_ci_u32_e32 v14, vcc_lo, s9, v2, vcc_lo
	v_lshlrev_b64 v[1:2], 4, v[3:4]
	v_mad_u64_u32 v[3:4], null, s21, v32, v[8:9]
	v_mov_b32_e32 v8, v11
	v_lshlrev_b64 v[4:5], 4, v[5:6]
	v_add_co_u32 v1, vcc_lo, v13, v1
	v_lshlrev_b64 v[6:7], 4, v[7:8]
	v_mov_b32_e32 v10, v3
	v_add_co_ci_u32_e32 v2, vcc_lo, v14, v2, vcc_lo
	v_add_co_u32 v11, vcc_lo, v13, v4
	v_lshlrev_b64 v[3:4], 4, v[9:10]
	v_add_co_ci_u32_e32 v12, vcc_lo, v14, v5, vcc_lo
	v_add_co_u32 v9, vcc_lo, v13, v6
	v_add_co_ci_u32_e32 v10, vcc_lo, v14, v7, vcc_lo
	v_add_co_u32 v13, vcc_lo, v13, v3
	v_add_co_ci_u32_e32 v14, vcc_lo, v14, v4, vcc_lo
	s_clause 0x3
	global_load_dwordx4 v[1:4], v[1:2], off
	global_load_dwordx4 v[5:8], v[11:12], off
	;; [unrolled: 1-line block ×4, first 2 shown]
	s_waitcnt vmcnt(3)
	ds_write_b128 v17, v[1:4]
	s_waitcnt vmcnt(2)
	ds_write_b128 v17, v[5:8] offset:768
	s_waitcnt vmcnt(1)
	ds_write_b128 v17, v[9:12] offset:1536
	;; [unrolled: 2-line block ×3, first 2 shown]
.LBB0_14:
	s_or_b32 exec_lo, exec_lo, s17
	s_add_u32 s8, 0, 0x99986000
	s_addc_u32 s9, 0, 0x59
	s_mul_hi_u32 s15, s8, -10
	s_add_i32 s9, s9, 0x19999940
	v_mov_b32_e32 v1, 0x556
	s_sub_i32 s15, s15, s8
	s_mul_i32 s18, s9, -10
	s_mul_i32 s14, s8, -10
	s_add_i32 s15, s15, s18
	s_mul_hi_u32 s17, s9, s14
	s_mul_i32 s18, s9, s14
	s_mul_i32 s19, s8, s15
	s_mul_hi_u32 s14, s8, s14
	v_mul_u32_u24_sdwa v1, v0, v1 dst_sel:DWORD dst_unused:UNUSED_PAD src0_sel:WORD_0 src1_sel:DWORD
	s_mul_hi_u32 s20, s8, s15
	s_add_u32 s14, s14, s19
	s_addc_u32 s19, 0, s20
	s_mul_hi_u32 s20, s9, s15
	s_add_u32 s14, s14, s18
	s_addc_u32 s14, s19, s17
	s_mul_i32 s15, s9, s15
	v_lshrrev_b32_e32 v5, 16, v1
	s_addc_u32 s17, s20, 0
	s_add_u32 s14, s14, s15
	s_waitcnt lgkmcnt(0)
	v_add_co_u32 v3, s8, s8, s14
	s_addc_u32 s14, 0, s17
	s_cmp_lg_u32 s8, 0
	v_add_co_u32 v40, s8, s50, v5
	v_add_co_ci_u32_e64 v6, null, s33, 0, s8
	s_addc_u32 s8, s9, s14
	v_mul_hi_u32 v7, v40, v3
	v_mad_u64_u32 v[1:2], null, v40, s8, 0
	v_mad_u64_u32 v[3:4], null, v6, v3, 0
	v_mul_lo_u16 v5, v5, 48
	s_barrier
	buffer_gl0_inv
	s_mov_b32 s15, 0x3fe6a09e
	v_add_co_u32 v7, vcc_lo, v7, v1
	v_add_co_ci_u32_e32 v8, vcc_lo, 0, v2, vcc_lo
	v_mad_u64_u32 v[1:2], null, v6, s8, 0
	v_add_co_u32 v3, vcc_lo, v7, v3
	v_add_co_ci_u32_e32 v3, vcc_lo, v8, v4, vcc_lo
	v_sub_nc_u16 v57, v0, v5
	s_mov_b32 s8, 0x667f3bcd
	v_add_co_ci_u32_e32 v2, vcc_lo, 0, v2, vcc_lo
	v_add_co_u32 v1, vcc_lo, v3, v1
	v_and_b32_e32 v42, 0xffff, v57
	v_add_co_ci_u32_e32 v3, vcc_lo, 0, v2, vcc_lo
	v_mad_u64_u32 v[1:2], null, v1, 10, 0
	s_mov_b32 s9, 0xbfe6a09e
	s_mov_b32 s14, s8
	v_mad_u64_u32 v[2:3], null, v3, 10, v[2:3]
	v_sub_co_u32 v1, vcc_lo, v40, v1
	v_sub_co_ci_u32_e32 v2, vcc_lo, v6, v2, vcc_lo
	v_sub_co_u32 v3, vcc_lo, v1, 10
	v_subrev_co_ci_u32_e32 v4, vcc_lo, 0, v2, vcc_lo
	v_cmp_lt_u32_e32 vcc_lo, 9, v3
	v_cndmask_b32_e64 v6, 0, -1, vcc_lo
	v_cmp_lt_u32_e32 vcc_lo, 9, v1
	v_cndmask_b32_e64 v7, 0, -1, vcc_lo
	v_cmp_eq_u32_e32 vcc_lo, 0, v4
	v_cndmask_b32_e32 v4, -1, v6, vcc_lo
	v_cmp_eq_u32_e32 vcc_lo, 0, v2
	v_add_nc_u32_e32 v6, -10, v3
	v_cndmask_b32_e32 v0, -1, v7, vcc_lo
	v_cmp_ne_u32_e32 vcc_lo, 0, v4
	v_cndmask_b32_e32 v2, v3, v6, vcc_lo
	v_cmp_ne_u32_e32 vcc_lo, 0, v0
	v_cndmask_b32_e32 v0, v1, v2, vcc_lo
	v_lshlrev_b32_e32 v1, 4, v42
	v_mul_u32_u24_e32 v0, 0xc0, v0
	v_add_nc_u32_e32 v44, 0, v1
	v_lshlrev_b32_e32 v43, 4, v0
	v_add_nc_u32_e32 v39, v44, v43
	v_add3_u32 v41, 0, v43, v1
	ds_read_b128 v[0:3], v39 offset:1536
	ds_read_b128 v[4:7], v41
	ds_read_b128 v[8:11], v39 offset:768
	ds_read_b128 v[12:15], v39 offset:2304
	;; [unrolled: 1-line block ×6, first 2 shown]
	s_waitcnt lgkmcnt(0)
	s_barrier
	buffer_gl0_inv
	v_add_f64 v[0:1], v[4:5], -v[0:1]
	v_add_f64 v[2:3], v[6:7], -v[2:3]
	;; [unrolled: 1-line block ×8, first 2 shown]
	v_fma_f64 v[4:5], v[4:5], 2.0, -v[0:1]
	v_fma_f64 v[6:7], v[6:7], 2.0, -v[2:3]
	;; [unrolled: 1-line block ×6, first 2 shown]
	v_add_f64 v[45:46], v[0:1], -v[14:15]
	v_add_f64 v[47:48], v[2:3], v[12:13]
	v_fma_f64 v[12:13], v[24:25], 2.0, -v[28:29]
	v_fma_f64 v[14:15], v[26:27], 2.0, -v[30:31]
	v_add_f64 v[26:27], v[20:21], -v[30:31]
	v_add_f64 v[24:25], v[22:23], v[28:29]
	v_add_f64 v[8:9], v[4:5], -v[8:9]
	v_add_f64 v[10:11], v[6:7], -v[10:11]
	v_fma_f64 v[49:50], v[0:1], 2.0, -v[45:46]
	v_fma_f64 v[51:52], v[2:3], 2.0, -v[47:48]
	v_add_f64 v[0:1], v[16:17], -v[12:13]
	v_add_f64 v[2:3], v[18:19], -v[14:15]
	v_fma_f64 v[53:54], v[20:21], 2.0, -v[26:27]
	v_fma_f64 v[20:21], v[22:23], 2.0, -v[24:25]
	v_fma_f64 v[12:13], v[26:27], s[14:15], v[45:46]
	v_fma_f64 v[55:56], v[24:25], s[14:15], v[47:48]
	v_fma_f64 v[4:5], v[4:5], 2.0, -v[8:9]
	v_fma_f64 v[6:7], v[6:7], 2.0, -v[10:11]
	;; [unrolled: 1-line block ×4, first 2 shown]
	v_fma_f64 v[18:19], v[53:54], s[8:9], v[49:50]
	v_fma_f64 v[22:23], v[20:21], s[8:9], v[51:52]
	v_add_f64 v[28:29], v[8:9], -v[2:3]
	v_add_f64 v[30:31], v[10:11], v[0:1]
	v_fma_f64 v[24:25], v[24:25], s[8:9], v[12:13]
	v_fma_f64 v[26:27], v[26:27], s[14:15], v[55:56]
	v_add_f64 v[12:13], v[4:5], -v[14:15]
	v_add_f64 v[14:15], v[6:7], -v[16:17]
	v_fma_f64 v[20:21], v[20:21], s[8:9], v[18:19]
	v_fma_f64 v[22:23], v[53:54], s[14:15], v[22:23]
	v_fma_f64 v[8:9], v[8:9], 2.0, -v[28:29]
	v_fma_f64 v[10:11], v[10:11], 2.0, -v[30:31]
	;; [unrolled: 1-line block ×4, first 2 shown]
	s_mov_b32 s8, exec_lo
	v_fma_f64 v[0:1], v[4:5], 2.0, -v[12:13]
	v_fma_f64 v[2:3], v[6:7], 2.0, -v[14:15]
	;; [unrolled: 1-line block ×4, first 2 shown]
	v_cmpx_gt_u16_e32 24, v57
	s_cbranch_execz .LBB0_16
; %bb.15:
	v_mul_u32_u24_e32 v45, 0x70, v42
	v_add3_u32 v44, v44, v45, v43
	ds_write_b128 v44, v[0:3]
	ds_write_b128 v44, v[4:7] offset:16
	ds_write_b128 v44, v[8:11] offset:32
	;; [unrolled: 1-line block ×7, first 2 shown]
.LBB0_16:
	s_or_b32 exec_lo, exec_lo, s8
	v_cmp_gt_u16_e32 vcc_lo, 32, v42
	s_waitcnt lgkmcnt(0)
	s_barrier
	buffer_gl0_inv
	s_and_saveexec_b32 s8, vcc_lo
	s_cbranch_execz .LBB0_18
; %bb.17:
	ds_read_b128 v[0:3], v41
	ds_read_b128 v[4:7], v39 offset:512
	ds_read_b128 v[8:11], v39 offset:1024
	;; [unrolled: 1-line block ×5, first 2 shown]
.LBB0_18:
	s_or_b32 exec_lo, exec_lo, s8
	s_waitcnt lgkmcnt(0)
	s_barrier
	buffer_gl0_inv
	s_and_saveexec_b32 s8, vcc_lo
	s_cbranch_execz .LBB0_20
; %bb.19:
	v_and_b32_e32 v62, 7, v42
	s_mov_b32 s14, 0xe8584caa
	s_mov_b32 s15, 0x3febb67a
	;; [unrolled: 1-line block ×4, first 2 shown]
	v_mul_u32_u24_e32 v24, 5, v62
	v_lshlrev_b32_e32 v52, 4, v24
	s_clause 0x4
	global_load_dwordx4 v[24:27], v52, s[26:27] offset:32
	global_load_dwordx4 v[28:31], v52, s[26:27] offset:64
	global_load_dwordx4 v[44:47], v52, s[26:27]
	global_load_dwordx4 v[48:51], v52, s[26:27] offset:16
	global_load_dwordx4 v[52:55], v52, s[26:27] offset:48
	s_waitcnt vmcnt(4)
	v_mul_f64 v[56:57], v[18:19], v[26:27]
	v_mul_f64 v[26:27], v[16:17], v[26:27]
	s_waitcnt vmcnt(3)
	v_mul_f64 v[58:59], v[20:21], v[30:31]
	v_mul_f64 v[30:31], v[22:23], v[30:31]
	;; [unrolled: 3-line block ×3, first 2 shown]
	v_fma_f64 v[16:17], v[16:17], v[24:25], -v[56:57]
	v_fma_f64 v[18:19], v[18:19], v[24:25], v[26:27]
	v_fma_f64 v[22:23], v[22:23], v[28:29], v[58:59]
	v_fma_f64 v[20:21], v[20:21], v[28:29], -v[30:31]
	s_waitcnt vmcnt(1)
	v_mul_f64 v[24:25], v[10:11], v[50:51]
	v_mul_f64 v[26:27], v[8:9], v[50:51]
	s_waitcnt vmcnt(0)
	v_mul_f64 v[28:29], v[12:13], v[54:55]
	v_fma_f64 v[4:5], v[4:5], v[44:45], -v[60:61]
	v_fma_f64 v[6:7], v[6:7], v[44:45], v[46:47]
	v_mul_f64 v[46:47], v[14:15], v[54:55]
	v_add_f64 v[30:31], v[18:19], v[22:23]
	v_add_f64 v[44:45], v[16:17], v[20:21]
	v_fma_f64 v[8:9], v[8:9], v[48:49], -v[24:25]
	v_fma_f64 v[10:11], v[10:11], v[48:49], v[26:27]
	v_fma_f64 v[14:15], v[14:15], v[52:53], v[28:29]
	v_add_f64 v[24:25], v[18:19], -v[22:23]
	v_add_f64 v[26:27], v[16:17], -v[20:21]
	v_fma_f64 v[12:13], v[12:13], v[52:53], -v[46:47]
	v_fma_f64 v[28:29], v[30:31], -0.5, v[6:7]
	v_fma_f64 v[30:31], v[44:45], -0.5, v[4:5]
	v_add_f64 v[6:7], v[6:7], v[18:19]
	v_add_f64 v[4:5], v[4:5], v[16:17]
	;; [unrolled: 1-line block ×4, first 2 shown]
	v_fma_f64 v[46:47], v[26:27], s[14:15], v[28:29]
	v_fma_f64 v[48:49], v[24:25], s[14:15], v[30:31]
	;; [unrolled: 1-line block ×4, first 2 shown]
	v_add_f64 v[28:29], v[8:9], -v[12:13]
	v_add_f64 v[30:31], v[2:3], v[10:11]
	v_add_f64 v[8:9], v[0:1], v[8:9]
	v_fma_f64 v[2:3], v[44:45], -0.5, v[2:3]
	v_add_f64 v[10:11], v[10:11], -v[14:15]
	v_fma_f64 v[0:1], v[50:51], -0.5, v[0:1]
	v_add_f64 v[6:7], v[6:7], v[22:23]
	v_add_f64 v[4:5], v[4:5], v[20:21]
	v_mul_f64 v[16:17], v[46:47], -0.5
	v_mul_f64 v[18:19], v[48:49], s[18:19]
	v_mul_f64 v[44:45], v[26:27], s[14:15]
	v_mul_f64 v[50:51], v[24:25], -0.5
	v_add_f64 v[14:15], v[30:31], v[14:15]
	v_add_f64 v[8:9], v[8:9], v[12:13]
	v_fma_f64 v[12:13], v[28:29], s[14:15], v[2:3]
	v_fma_f64 v[20:21], v[28:29], s[18:19], v[2:3]
	;; [unrolled: 1-line block ×3, first 2 shown]
	v_fma_f64 v[22:23], v[26:27], 0.5, v[18:19]
	v_fma_f64 v[26:27], v[10:11], s[14:15], v[0:1]
	v_fma_f64 v[28:29], v[48:49], 0.5, v[44:45]
	v_fma_f64 v[24:25], v[10:11], s[18:19], v[0:1]
	v_fma_f64 v[30:31], v[46:47], s[14:15], v[50:51]
	v_lshrrev_b32_e32 v0, 3, v42
	v_add_f64 v[2:3], v[14:15], -v[6:7]
	v_add_f64 v[6:7], v[14:15], v[6:7]
	v_mul_u32_u24_e32 v44, 48, v0
	v_add_f64 v[0:1], v[8:9], -v[4:5]
	v_add_f64 v[4:5], v[8:9], v[4:5]
	v_add_f64 v[10:11], v[12:13], -v[16:17]
	v_add_f64 v[14:15], v[20:21], -v[22:23]
	v_add_f64 v[22:23], v[20:21], v[22:23]
	v_add_f64 v[20:21], v[26:27], v[28:29]
	;; [unrolled: 1-line block ×4, first 2 shown]
	v_add_f64 v[12:13], v[26:27], -v[28:29]
	v_add_f64 v[8:9], v[24:25], -v[30:31]
	v_or_b32_e32 v24, v44, v62
	v_lshlrev_b32_e32 v24, 4, v24
	v_add3_u32 v24, 0, v24, v43
	ds_write_b128 v24, v[4:7]
	ds_write_b128 v24, v[0:3] offset:384
	ds_write_b128 v24, v[20:23] offset:128
	;; [unrolled: 1-line block ×5, first 2 shown]
.LBB0_20:
	s_or_b32 exec_lo, exec_lo, s8
	v_mul_u32_u24_e32 v0, 3, v42
	s_load_dwordx2 s[6:7], s[6:7], 0x0
	s_waitcnt lgkmcnt(0)
	s_barrier
	buffer_gl0_inv
	v_lshlrev_b32_e32 v8, 4, v0
	v_add_nc_u32_e32 v13, 0x90, v42
	v_add_nc_u32_e32 v14, 48, v42
	v_mul_lo_u32 v12, v40, v42
	v_add_nc_u32_e32 v15, 0x60, v42
	s_clause 0x2
	global_load_dwordx4 v[0:3], v8, s[26:27] offset:640
	global_load_dwordx4 v[4:7], v8, s[26:27] offset:656
	;; [unrolled: 1-line block ×3, first 2 shown]
	v_mul_lo_u32 v13, v40, v13
	v_mul_lo_u32 v14, v40, v14
	v_mov_b32_e32 v16, 4
	v_mul_lo_u32 v15, v40, v15
	v_bfe_u32 v17, v12, 8, 8
	v_lshlrev_b32_sdwa v40, v16, v12 dst_sel:DWORD dst_unused:UNUSED_PAD src0_sel:DWORD src1_sel:BYTE_0
	v_bfe_u32 v12, v13, 8, 8
	v_lshlrev_b32_sdwa v20, v16, v14 dst_sel:DWORD dst_unused:UNUSED_PAD src0_sel:DWORD src1_sel:BYTE_0
	v_bfe_u32 v14, v14, 8, 8
	v_lshl_or_b32 v50, v17, 4, 0x1000
	v_bfe_u32 v17, v15, 8, 8
	v_lshlrev_b32_sdwa v13, v16, v13 dst_sel:DWORD dst_unused:UNUSED_PAD src0_sel:DWORD src1_sel:BYTE_0
	v_lshl_or_b32 v18, v12, 4, 0x1000
	v_lshl_or_b32 v24, v14, 4, 0x1000
	v_lshlrev_b32_sdwa v28, v16, v15 dst_sel:DWORD dst_unused:UNUSED_PAD src0_sel:DWORD src1_sel:BYTE_0
	v_lshl_or_b32 v42, v17, 4, 0x1000
	s_clause 0x7
	global_load_dwordx4 v[12:15], v13, s[12:13]
	global_load_dwordx4 v[16:19], v18, s[12:13]
	;; [unrolled: 1-line block ×8, first 2 shown]
	ds_read_b128 v[54:57], v39 offset:768
	ds_read_b128 v[58:61], v39 offset:1536
	;; [unrolled: 1-line block ×3, first 2 shown]
	ds_read_b128 v[66:69], v41
	s_waitcnt vmcnt(0) lgkmcnt(0)
	s_barrier
	buffer_gl0_inv
	v_mul_f64 v[70:71], v[56:57], v[2:3]
	v_mul_f64 v[2:3], v[54:55], v[2:3]
	;; [unrolled: 1-line block ×6, first 2 shown]
	v_fma_f64 v[40:41], v[54:55], v[0:1], -v[70:71]
	v_fma_f64 v[0:1], v[56:57], v[0:1], v[2:3]
	v_fma_f64 v[2:3], v[58:59], v[4:5], -v[72:73]
	v_fma_f64 v[4:5], v[60:61], v[4:5], v[6:7]
	v_fma_f64 v[6:7], v[64:65], v[8:9], v[74:75]
	v_fma_f64 v[8:9], v[62:63], v[8:9], -v[10:11]
	v_mul_f64 v[56:57], v[12:13], v[18:19]
	v_mul_f64 v[58:59], v[20:21], v[26:27]
	;; [unrolled: 1-line block ×7, first 2 shown]
	v_add_f64 v[2:3], v[66:67], -v[2:3]
	v_add_f64 v[4:5], v[68:69], -v[4:5]
	;; [unrolled: 1-line block ×4, first 2 shown]
	v_fma_f64 v[14:15], v[14:15], v[16:17], v[56:57]
	v_fma_f64 v[22:23], v[22:23], v[24:25], v[58:59]
	v_fma_f64 v[12:13], v[12:13], v[16:17], -v[18:19]
	v_fma_f64 v[10:11], v[66:67], 2.0, -v[2:3]
	v_fma_f64 v[54:55], v[68:69], 2.0, -v[4:5]
	v_fma_f64 v[0:1], v[0:1], 2.0, -v[6:7]
	v_fma_f64 v[40:41], v[40:41], 2.0, -v[8:9]
	v_add_f64 v[8:9], v[4:5], v[8:9]
	v_add_f64 v[6:7], v[2:3], -v[6:7]
	v_add_f64 v[64:65], v[54:55], -v[0:1]
	;; [unrolled: 1-line block ×3, first 2 shown]
	v_mul_f64 v[0:1], v[48:49], v[52:53]
	v_fma_f64 v[52:53], v[4:5], 2.0, -v[8:9]
	v_fma_f64 v[4:5], v[2:3], 2.0, -v[6:7]
	v_fma_f64 v[2:3], v[30:31], v[42:43], v[60:61]
	v_fma_f64 v[30:31], v[48:49], v[50:51], v[62:63]
	v_fma_f64 v[48:49], v[54:55], 2.0, -v[64:65]
	v_fma_f64 v[54:55], v[10:11], 2.0, -v[40:41]
	v_fma_f64 v[46:47], v[46:47], v[50:51], -v[0:1]
	v_mul_f64 v[0:1], v[8:9], v[14:15]
	v_mul_f64 v[14:15], v[6:7], v[14:15]
	v_fma_f64 v[10:11], v[20:21], v[24:25], -v[26:27]
	v_mul_f64 v[16:17], v[52:53], v[22:23]
	v_mul_f64 v[18:19], v[4:5], v[22:23]
	;; [unrolled: 3-line block ×3, first 2 shown]
	v_mul_f64 v[26:27], v[48:49], v[30:31]
	v_mul_f64 v[28:29], v[54:55], v[30:31]
	v_fma_f64 v[0:1], v[6:7], v[12:13], -v[0:1]
	v_fma_f64 v[2:3], v[8:9], v[12:13], v[14:15]
	v_fma_f64 v[4:5], v[4:5], v[10:11], -v[16:17]
	v_fma_f64 v[6:7], v[52:53], v[10:11], v[18:19]
	;; [unrolled: 2-line block ×4, first 2 shown]
	ds_write_b128 v39, v[0:3] offset:2304
	ds_write_b128 v39, v[4:7] offset:768
	;; [unrolled: 1-line block ×3, first 2 shown]
	ds_write_b128 v39, v[12:15]
	s_waitcnt lgkmcnt(0)
	s_barrier
	buffer_gl0_inv
	s_and_saveexec_b32 s8, s16
	s_cbranch_execz .LBB0_22
; %bb.21:
	v_mad_u64_u32 v[0:1], null, s2, v38, 0
	v_mad_u64_u32 v[2:3], null, s0, v37, 0
	;; [unrolled: 1-line block ×4, first 2 shown]
	s_mul_i32 s7, s7, s24
	s_mul_hi_u32 s8, s6, s24
	v_mad_u64_u32 v[4:5], null, s3, v38, v[1:2]
	s_mul_i32 s2, s6, s24
	s_add_i32 s3, s8, s7
	v_mad_u64_u32 v[16:17], null, s0, v32, 0
	s_lshl_b64 s[2:3], s[2:3], 4
	v_add3_u32 v12, 0, v35, v36
	v_mad_u64_u32 v[5:6], null, s1, v37, v[3:4]
	v_mov_b32_e32 v1, v4
	v_mov_b32_e32 v4, v9
	s_add_u32 s6, s10, s2
	s_addc_u32 s7, s11, s3
	s_lshl_b64 s[2:3], s[4:5], 4
	v_lshlrev_b64 v[0:1], 4, v[0:1]
	v_mov_b32_e32 v3, v5
	v_mov_b32_e32 v5, v11
	s_add_u32 s2, s6, s2
	s_addc_u32 s3, s7, s3
	v_lshlrev_b64 v[2:3], 4, v[2:3]
	v_mad_u64_u32 v[6:7], null, s1, v33, v[4:5]
	v_add_co_u32 v25, vcc_lo, s2, v0
	v_mov_b32_e32 v0, v17
	v_add_co_ci_u32_e32 v26, vcc_lo, s3, v1, vcc_lo
	v_add_co_u32 v18, vcc_lo, v25, v2
	v_mad_u64_u32 v[4:5], null, s1, v34, v[5:6]
	v_mov_b32_e32 v9, v6
	v_mad_u64_u32 v[20:21], null, s1, v32, v[0:1]
	v_add_co_ci_u32_e32 v19, vcc_lo, v26, v3, vcc_lo
	v_lshlrev_b64 v[21:22], 4, v[8:9]
	v_mov_b32_e32 v11, v4
	ds_read_b128 v[0:3], v12
	ds_read_b128 v[4:7], v12 offset:768
	v_mov_b32_e32 v17, v20
	v_lshlrev_b64 v[23:24], 4, v[10:11]
	ds_read_b128 v[8:11], v12 offset:1536
	ds_read_b128 v[12:15], v12 offset:2304
	v_add_co_u32 v20, vcc_lo, v25, v21
	v_lshlrev_b64 v[16:17], 4, v[16:17]
	v_add_co_ci_u32_e32 v21, vcc_lo, v26, v22, vcc_lo
	v_add_co_u32 v22, vcc_lo, v25, v23
	v_add_co_ci_u32_e32 v23, vcc_lo, v26, v24, vcc_lo
	v_add_co_u32 v16, vcc_lo, v25, v16
	v_add_co_ci_u32_e32 v17, vcc_lo, v26, v17, vcc_lo
	s_waitcnt lgkmcnt(3)
	global_store_dwordx4 v[18:19], v[0:3], off
	s_waitcnt lgkmcnt(2)
	global_store_dwordx4 v[20:21], v[4:7], off
	;; [unrolled: 2-line block ×4, first 2 shown]
.LBB0_22:
	s_endpgm
	.section	.rodata,"a",@progbits
	.p2align	6, 0x0
	.amdhsa_kernel fft_rtc_fwd_len192_factors_8_6_4_wgs_480_tpt_48_dp_op_CI_CI_sbcc_twdbase8_2step
		.amdhsa_group_segment_fixed_size 0
		.amdhsa_private_segment_fixed_size 0
		.amdhsa_kernarg_size 112
		.amdhsa_user_sgpr_count 6
		.amdhsa_user_sgpr_private_segment_buffer 1
		.amdhsa_user_sgpr_dispatch_ptr 0
		.amdhsa_user_sgpr_queue_ptr 0
		.amdhsa_user_sgpr_kernarg_segment_ptr 1
		.amdhsa_user_sgpr_dispatch_id 0
		.amdhsa_user_sgpr_flat_scratch_init 0
		.amdhsa_user_sgpr_private_segment_size 0
		.amdhsa_wavefront_size32 1
		.amdhsa_uses_dynamic_stack 0
		.amdhsa_system_sgpr_private_segment_wavefront_offset 0
		.amdhsa_system_sgpr_workgroup_id_x 1
		.amdhsa_system_sgpr_workgroup_id_y 0
		.amdhsa_system_sgpr_workgroup_id_z 0
		.amdhsa_system_sgpr_workgroup_info 0
		.amdhsa_system_vgpr_workitem_id 0
		.amdhsa_next_free_vgpr 76
		.amdhsa_next_free_sgpr 59
		.amdhsa_reserve_vcc 1
		.amdhsa_reserve_flat_scratch 0
		.amdhsa_float_round_mode_32 0
		.amdhsa_float_round_mode_16_64 0
		.amdhsa_float_denorm_mode_32 3
		.amdhsa_float_denorm_mode_16_64 3
		.amdhsa_dx10_clamp 1
		.amdhsa_ieee_mode 1
		.amdhsa_fp16_overflow 0
		.amdhsa_workgroup_processor_mode 1
		.amdhsa_memory_ordered 1
		.amdhsa_forward_progress 0
		.amdhsa_shared_vgpr_count 0
		.amdhsa_exception_fp_ieee_invalid_op 0
		.amdhsa_exception_fp_denorm_src 0
		.amdhsa_exception_fp_ieee_div_zero 0
		.amdhsa_exception_fp_ieee_overflow 0
		.amdhsa_exception_fp_ieee_underflow 0
		.amdhsa_exception_fp_ieee_inexact 0
		.amdhsa_exception_int_div_zero 0
	.end_amdhsa_kernel
	.text
.Lfunc_end0:
	.size	fft_rtc_fwd_len192_factors_8_6_4_wgs_480_tpt_48_dp_op_CI_CI_sbcc_twdbase8_2step, .Lfunc_end0-fft_rtc_fwd_len192_factors_8_6_4_wgs_480_tpt_48_dp_op_CI_CI_sbcc_twdbase8_2step
                                        ; -- End function
	.section	.AMDGPU.csdata,"",@progbits
; Kernel info:
; codeLenInByte = 5132
; NumSgprs: 61
; NumVgprs: 76
; ScratchSize: 0
; MemoryBound: 0
; FloatMode: 240
; IeeeMode: 1
; LDSByteSize: 0 bytes/workgroup (compile time only)
; SGPRBlocks: 7
; VGPRBlocks: 9
; NumSGPRsForWavesPerEU: 61
; NumVGPRsForWavesPerEU: 76
; Occupancy: 12
; WaveLimiterHint : 1
; COMPUTE_PGM_RSRC2:SCRATCH_EN: 0
; COMPUTE_PGM_RSRC2:USER_SGPR: 6
; COMPUTE_PGM_RSRC2:TRAP_HANDLER: 0
; COMPUTE_PGM_RSRC2:TGID_X_EN: 1
; COMPUTE_PGM_RSRC2:TGID_Y_EN: 0
; COMPUTE_PGM_RSRC2:TGID_Z_EN: 0
; COMPUTE_PGM_RSRC2:TIDIG_COMP_CNT: 0
	.text
	.p2alignl 6, 3214868480
	.fill 48, 4, 3214868480
	.type	__hip_cuid_7aee51039f46a590,@object ; @__hip_cuid_7aee51039f46a590
	.section	.bss,"aw",@nobits
	.globl	__hip_cuid_7aee51039f46a590
__hip_cuid_7aee51039f46a590:
	.byte	0                               ; 0x0
	.size	__hip_cuid_7aee51039f46a590, 1

	.ident	"AMD clang version 19.0.0git (https://github.com/RadeonOpenCompute/llvm-project roc-6.4.0 25133 c7fe45cf4b819c5991fe208aaa96edf142730f1d)"
	.section	".note.GNU-stack","",@progbits
	.addrsig
	.addrsig_sym __hip_cuid_7aee51039f46a590
	.amdgpu_metadata
---
amdhsa.kernels:
  - .args:
      - .actual_access:  read_only
        .address_space:  global
        .offset:         0
        .size:           8
        .value_kind:     global_buffer
      - .address_space:  global
        .offset:         8
        .size:           8
        .value_kind:     global_buffer
      - .offset:         16
        .size:           8
        .value_kind:     by_value
      - .actual_access:  read_only
        .address_space:  global
        .offset:         24
        .size:           8
        .value_kind:     global_buffer
      - .actual_access:  read_only
        .address_space:  global
        .offset:         32
        .size:           8
        .value_kind:     global_buffer
      - .actual_access:  read_only
        .address_space:  global
        .offset:         40
        .size:           8
        .value_kind:     global_buffer
      - .offset:         48
        .size:           8
        .value_kind:     by_value
      - .actual_access:  read_only
        .address_space:  global
        .offset:         56
        .size:           8
        .value_kind:     global_buffer
      - .actual_access:  read_only
        .address_space:  global
        .offset:         64
        .size:           8
        .value_kind:     global_buffer
      - .offset:         72
        .size:           4
        .value_kind:     by_value
      - .actual_access:  read_only
        .address_space:  global
        .offset:         80
        .size:           8
        .value_kind:     global_buffer
      - .actual_access:  read_only
        .address_space:  global
        .offset:         88
        .size:           8
        .value_kind:     global_buffer
      - .actual_access:  read_only
        .address_space:  global
        .offset:         96
        .size:           8
        .value_kind:     global_buffer
      - .actual_access:  write_only
        .address_space:  global
        .offset:         104
        .size:           8
        .value_kind:     global_buffer
    .group_segment_fixed_size: 0
    .kernarg_segment_align: 8
    .kernarg_segment_size: 112
    .language:       OpenCL C
    .language_version:
      - 2
      - 0
    .max_flat_workgroup_size: 480
    .name:           fft_rtc_fwd_len192_factors_8_6_4_wgs_480_tpt_48_dp_op_CI_CI_sbcc_twdbase8_2step
    .private_segment_fixed_size: 0
    .sgpr_count:     61
    .sgpr_spill_count: 0
    .symbol:         fft_rtc_fwd_len192_factors_8_6_4_wgs_480_tpt_48_dp_op_CI_CI_sbcc_twdbase8_2step.kd
    .uniform_work_group_size: 1
    .uses_dynamic_stack: false
    .vgpr_count:     76
    .vgpr_spill_count: 0
    .wavefront_size: 32
    .workgroup_processor_mode: 1
amdhsa.target:   amdgcn-amd-amdhsa--gfx1030
amdhsa.version:
  - 1
  - 2
...

	.end_amdgpu_metadata
